;; amdgpu-corpus repo=ROCm/rocFFT kind=compiled arch=gfx906 opt=O3
	.text
	.amdgcn_target "amdgcn-amd-amdhsa--gfx906"
	.amdhsa_code_object_version 6
	.protected	fft_rtc_back_len490_factors_10_7_7_wgs_210_tpt_70_dp_ip_CI_unitstride_sbrr_C2R_dirReg ; -- Begin function fft_rtc_back_len490_factors_10_7_7_wgs_210_tpt_70_dp_ip_CI_unitstride_sbrr_C2R_dirReg
	.globl	fft_rtc_back_len490_factors_10_7_7_wgs_210_tpt_70_dp_ip_CI_unitstride_sbrr_C2R_dirReg
	.p2align	8
	.type	fft_rtc_back_len490_factors_10_7_7_wgs_210_tpt_70_dp_ip_CI_unitstride_sbrr_C2R_dirReg,@function
fft_rtc_back_len490_factors_10_7_7_wgs_210_tpt_70_dp_ip_CI_unitstride_sbrr_C2R_dirReg: ; @fft_rtc_back_len490_factors_10_7_7_wgs_210_tpt_70_dp_ip_CI_unitstride_sbrr_C2R_dirReg
; %bb.0:
	s_load_dwordx2 s[2:3], s[4:5], 0x50
	s_load_dwordx4 s[8:11], s[4:5], 0x0
	s_load_dwordx2 s[12:13], s[4:5], 0x18
	v_mul_u32_u24_e32 v1, 0x3a9, v0
	v_lshrrev_b32_e32 v1, 16, v1
	v_mad_u64_u32 v[1:2], s[0:1], s6, 3, v[1:2]
	v_mov_b32_e32 v5, 0
	s_waitcnt lgkmcnt(0)
	v_cmp_lt_u64_e64 s[0:1], s[10:11], 2
	v_mov_b32_e32 v2, v5
	v_mov_b32_e32 v3, 0
	;; [unrolled: 1-line block ×3, first 2 shown]
	s_and_b64 vcc, exec, s[0:1]
	v_mov_b32_e32 v4, 0
	v_mov_b32_e32 v9, v1
	s_cbranch_vccnz .LBB0_8
; %bb.1:
	s_load_dwordx2 s[0:1], s[4:5], 0x10
	s_add_u32 s6, s12, 8
	s_addc_u32 s7, s13, 0
	v_mov_b32_e32 v3, 0
	v_mov_b32_e32 v8, v2
	s_waitcnt lgkmcnt(0)
	s_add_u32 s16, s0, 8
	s_mov_b64 s[14:15], 1
	v_mov_b32_e32 v4, 0
	s_addc_u32 s17, s1, 0
	v_mov_b32_e32 v7, v1
.LBB0_2:                                ; =>This Inner Loop Header: Depth=1
	s_load_dwordx2 s[18:19], s[16:17], 0x0
                                        ; implicit-def: $vgpr9_vgpr10
	s_waitcnt lgkmcnt(0)
	v_or_b32_e32 v6, s19, v8
	v_cmp_ne_u64_e32 vcc, 0, v[5:6]
	s_and_saveexec_b64 s[0:1], vcc
	s_xor_b64 s[20:21], exec, s[0:1]
	s_cbranch_execz .LBB0_4
; %bb.3:                                ;   in Loop: Header=BB0_2 Depth=1
	v_cvt_f32_u32_e32 v2, s18
	v_cvt_f32_u32_e32 v6, s19
	s_sub_u32 s0, 0, s18
	s_subb_u32 s1, 0, s19
	v_mac_f32_e32 v2, 0x4f800000, v6
	v_rcp_f32_e32 v2, v2
	v_mul_f32_e32 v2, 0x5f7ffffc, v2
	v_mul_f32_e32 v6, 0x2f800000, v2
	v_trunc_f32_e32 v6, v6
	v_mac_f32_e32 v2, 0xcf800000, v6
	v_cvt_u32_f32_e32 v6, v6
	v_cvt_u32_f32_e32 v2, v2
	v_mul_lo_u32 v9, s0, v6
	v_mul_hi_u32 v10, s0, v2
	v_mul_lo_u32 v12, s1, v2
	v_mul_lo_u32 v11, s0, v2
	v_add_u32_e32 v9, v10, v9
	v_add_u32_e32 v9, v9, v12
	v_mul_hi_u32 v10, v2, v11
	v_mul_lo_u32 v12, v2, v9
	v_mul_hi_u32 v14, v2, v9
	v_mul_hi_u32 v13, v6, v11
	v_mul_lo_u32 v11, v6, v11
	v_mul_hi_u32 v15, v6, v9
	v_add_co_u32_e32 v10, vcc, v10, v12
	v_addc_co_u32_e32 v12, vcc, 0, v14, vcc
	v_mul_lo_u32 v9, v6, v9
	v_add_co_u32_e32 v10, vcc, v10, v11
	v_addc_co_u32_e32 v10, vcc, v12, v13, vcc
	v_addc_co_u32_e32 v11, vcc, 0, v15, vcc
	v_add_co_u32_e32 v9, vcc, v10, v9
	v_addc_co_u32_e32 v10, vcc, 0, v11, vcc
	v_add_co_u32_e32 v2, vcc, v2, v9
	v_addc_co_u32_e32 v6, vcc, v6, v10, vcc
	v_mul_lo_u32 v9, s0, v6
	v_mul_hi_u32 v10, s0, v2
	v_mul_lo_u32 v11, s1, v2
	v_mul_lo_u32 v12, s0, v2
	v_add_u32_e32 v9, v10, v9
	v_add_u32_e32 v9, v9, v11
	v_mul_lo_u32 v13, v2, v9
	v_mul_hi_u32 v14, v2, v12
	v_mul_hi_u32 v15, v2, v9
	;; [unrolled: 1-line block ×3, first 2 shown]
	v_mul_lo_u32 v12, v6, v12
	v_mul_hi_u32 v10, v6, v9
	v_add_co_u32_e32 v13, vcc, v14, v13
	v_addc_co_u32_e32 v14, vcc, 0, v15, vcc
	v_mul_lo_u32 v9, v6, v9
	v_add_co_u32_e32 v12, vcc, v13, v12
	v_addc_co_u32_e32 v11, vcc, v14, v11, vcc
	v_addc_co_u32_e32 v10, vcc, 0, v10, vcc
	v_add_co_u32_e32 v9, vcc, v11, v9
	v_addc_co_u32_e32 v10, vcc, 0, v10, vcc
	v_add_co_u32_e32 v2, vcc, v2, v9
	v_addc_co_u32_e32 v6, vcc, v6, v10, vcc
	v_mad_u64_u32 v[9:10], s[0:1], v7, v6, 0
	v_mul_hi_u32 v11, v7, v2
	v_add_co_u32_e32 v13, vcc, v11, v9
	v_addc_co_u32_e32 v14, vcc, 0, v10, vcc
	v_mad_u64_u32 v[9:10], s[0:1], v8, v2, 0
	v_mad_u64_u32 v[11:12], s[0:1], v8, v6, 0
	v_add_co_u32_e32 v2, vcc, v13, v9
	v_addc_co_u32_e32 v2, vcc, v14, v10, vcc
	v_addc_co_u32_e32 v6, vcc, 0, v12, vcc
	v_add_co_u32_e32 v2, vcc, v2, v11
	v_addc_co_u32_e32 v6, vcc, 0, v6, vcc
	v_mul_lo_u32 v11, s19, v2
	v_mul_lo_u32 v12, s18, v6
	v_mad_u64_u32 v[9:10], s[0:1], s18, v2, 0
	v_add3_u32 v10, v10, v12, v11
	v_sub_u32_e32 v11, v8, v10
	v_mov_b32_e32 v12, s19
	v_sub_co_u32_e32 v9, vcc, v7, v9
	v_subb_co_u32_e64 v11, s[0:1], v11, v12, vcc
	v_subrev_co_u32_e64 v12, s[0:1], s18, v9
	v_subbrev_co_u32_e64 v11, s[0:1], 0, v11, s[0:1]
	v_cmp_le_u32_e64 s[0:1], s19, v11
	v_cndmask_b32_e64 v13, 0, -1, s[0:1]
	v_cmp_le_u32_e64 s[0:1], s18, v12
	v_cndmask_b32_e64 v12, 0, -1, s[0:1]
	v_cmp_eq_u32_e64 s[0:1], s19, v11
	v_cndmask_b32_e64 v11, v13, v12, s[0:1]
	v_add_co_u32_e64 v12, s[0:1], 2, v2
	v_addc_co_u32_e64 v13, s[0:1], 0, v6, s[0:1]
	v_add_co_u32_e64 v14, s[0:1], 1, v2
	v_addc_co_u32_e64 v15, s[0:1], 0, v6, s[0:1]
	v_subb_co_u32_e32 v10, vcc, v8, v10, vcc
	v_cmp_ne_u32_e64 s[0:1], 0, v11
	v_cmp_le_u32_e32 vcc, s19, v10
	v_cndmask_b32_e64 v11, v15, v13, s[0:1]
	v_cndmask_b32_e64 v13, 0, -1, vcc
	v_cmp_le_u32_e32 vcc, s18, v9
	v_cndmask_b32_e64 v9, 0, -1, vcc
	v_cmp_eq_u32_e32 vcc, s19, v10
	v_cndmask_b32_e32 v9, v13, v9, vcc
	v_cmp_ne_u32_e32 vcc, 0, v9
	v_cndmask_b32_e32 v10, v6, v11, vcc
	v_cndmask_b32_e64 v6, v14, v12, s[0:1]
	v_cndmask_b32_e32 v9, v2, v6, vcc
.LBB0_4:                                ;   in Loop: Header=BB0_2 Depth=1
	s_andn2_saveexec_b64 s[0:1], s[20:21]
	s_cbranch_execz .LBB0_6
; %bb.5:                                ;   in Loop: Header=BB0_2 Depth=1
	v_cvt_f32_u32_e32 v2, s18
	s_sub_i32 s20, 0, s18
	v_rcp_iflag_f32_e32 v2, v2
	v_mul_f32_e32 v2, 0x4f7ffffe, v2
	v_cvt_u32_f32_e32 v2, v2
	v_mul_lo_u32 v6, s20, v2
	v_mul_hi_u32 v6, v2, v6
	v_add_u32_e32 v2, v2, v6
	v_mul_hi_u32 v2, v7, v2
	v_mul_lo_u32 v6, v2, s18
	v_add_u32_e32 v9, 1, v2
	v_sub_u32_e32 v6, v7, v6
	v_subrev_u32_e32 v10, s18, v6
	v_cmp_le_u32_e32 vcc, s18, v6
	v_cndmask_b32_e32 v6, v6, v10, vcc
	v_cndmask_b32_e32 v2, v2, v9, vcc
	v_add_u32_e32 v9, 1, v2
	v_cmp_le_u32_e32 vcc, s18, v6
	v_cndmask_b32_e32 v9, v2, v9, vcc
	v_mov_b32_e32 v10, v5
.LBB0_6:                                ;   in Loop: Header=BB0_2 Depth=1
	s_or_b64 exec, exec, s[0:1]
	v_mul_lo_u32 v2, v10, s18
	v_mul_lo_u32 v6, v9, s19
	v_mad_u64_u32 v[11:12], s[0:1], v9, s18, 0
	s_load_dwordx2 s[0:1], s[6:7], 0x0
	s_add_u32 s14, s14, 1
	v_add3_u32 v2, v12, v6, v2
	v_sub_co_u32_e32 v6, vcc, v7, v11
	v_subb_co_u32_e32 v2, vcc, v8, v2, vcc
	s_waitcnt lgkmcnt(0)
	v_mul_lo_u32 v2, s0, v2
	v_mul_lo_u32 v7, s1, v6
	v_mad_u64_u32 v[3:4], s[0:1], s0, v6, v[3:4]
	s_addc_u32 s15, s15, 0
	s_add_u32 s6, s6, 8
	v_add3_u32 v4, v7, v4, v2
	v_mov_b32_e32 v6, s10
	v_mov_b32_e32 v7, s11
	s_addc_u32 s7, s7, 0
	v_cmp_ge_u64_e32 vcc, s[14:15], v[6:7]
	s_add_u32 s16, s16, 8
	s_addc_u32 s17, s17, 0
	s_cbranch_vccnz .LBB0_8
; %bb.7:                                ;   in Loop: Header=BB0_2 Depth=1
	v_mov_b32_e32 v7, v9
	v_mov_b32_e32 v8, v10
	s_branch .LBB0_2
.LBB0_8:
	s_lshl_b64 s[0:1], s[10:11], 3
	s_add_u32 s0, s12, s0
	s_addc_u32 s1, s13, s1
	s_load_dwordx2 s[0:1], s[0:1], 0x0
	s_mov_b32 s6, 0xaaaaaaab
	v_mul_hi_u32 v5, v1, s6
	s_waitcnt lgkmcnt(0)
	v_mul_lo_u32 v6, s0, v10
	v_mul_lo_u32 v7, s1, v9
	v_mad_u64_u32 v[2:3], s[0:1], s0, v9, v[3:4]
	s_load_dwordx2 s[0:1], s[4:5], 0x20
	s_mov_b32 s4, 0x3a83a84
	v_lshrrev_b32_e32 v4, 1, v5
	v_mul_hi_u32 v5, v0, s4
	v_lshl_add_u32 v4, v4, 1, v4
	v_add3_u32 v3, v7, v3, v6
	v_sub_u32_e32 v1, v1, v4
	v_mul_u32_u24_e32 v11, 0x1eb, v1
	s_waitcnt lgkmcnt(0)
	v_cmp_gt_u64_e64 s[0:1], s[0:1], v[9:10]
	v_mul_u32_u24_e32 v1, 0x46, v5
	v_lshlrev_b64 v[42:43], 4, v[2:3]
	v_sub_u32_e32 v40, v0, v1
	v_lshlrev_b32_e32 v46, 4, v11
	s_and_saveexec_b64 s[4:5], s[0:1]
	s_cbranch_execz .LBB0_12
; %bb.9:
	v_mov_b32_e32 v41, 0
	v_mov_b32_e32 v0, s3
	v_add_co_u32_e32 v1, vcc, s2, v42
	v_lshlrev_b64 v[2:3], 4, v[40:41]
	v_addc_co_u32_e32 v0, vcc, v0, v43, vcc
	v_add_co_u32_e32 v20, vcc, v1, v2
	v_addc_co_u32_e32 v21, vcc, v0, v3, vcc
	v_add_co_u32_e32 v32, vcc, 0x1000, v20
	v_addc_co_u32_e32 v33, vcc, 0, v21, vcc
	global_load_dwordx4 v[3:6], v[20:21], off
	global_load_dwordx4 v[7:10], v[20:21], off offset:1120
	global_load_dwordx4 v[12:15], v[20:21], off offset:2240
	;; [unrolled: 1-line block ×3, first 2 shown]
	s_nop 0
	global_load_dwordx4 v[20:23], v[32:33], off offset:384
	global_load_dwordx4 v[24:27], v[32:33], off offset:1504
	;; [unrolled: 1-line block ×3, first 2 shown]
	v_lshlrev_b32_e32 v2, 4, v40
	s_movk_i32 s6, 0x45
	v_add3_u32 v2, 0, v46, v2
	v_cmp_eq_u32_e32 vcc, s6, v40
	s_waitcnt vmcnt(6)
	ds_write_b128 v2, v[3:6]
	s_waitcnt vmcnt(5)
	ds_write_b128 v2, v[7:10] offset:1120
	s_waitcnt vmcnt(4)
	ds_write_b128 v2, v[12:15] offset:2240
	;; [unrolled: 2-line block ×6, first 2 shown]
	s_and_saveexec_b64 s[6:7], vcc
	s_cbranch_execz .LBB0_11
; %bb.10:
	v_add_co_u32_e32 v3, vcc, 0x1000, v1
	v_addc_co_u32_e32 v4, vcc, 0, v0, vcc
	global_load_dwordx4 v[3:6], v[3:4], off offset:3744
	v_mov_b32_e32 v40, 0x45
	s_waitcnt vmcnt(0)
	ds_write_b128 v2, v[3:6] offset:6736
.LBB0_11:
	s_or_b64 exec, exec, s[6:7]
.LBB0_12:
	s_or_b64 exec, exec, s[4:5]
	v_lshl_add_u32 v44, v11, 4, 0
	v_lshlrev_b32_e32 v0, 4, v40
	v_add_u32_e32 v45, v44, v0
	s_waitcnt lgkmcnt(0)
	s_barrier
	v_sub_u32_e32 v10, v44, v0
	ds_read_b64 v[6:7], v45
	ds_read_b64 v[8:9], v10 offset:7840
	s_add_u32 s6, s8, 0x1e00
	s_addc_u32 s7, s9, 0
	v_cmp_ne_u32_e32 vcc, 0, v40
                                        ; implicit-def: $vgpr4_vgpr5
	s_waitcnt lgkmcnt(0)
	v_add_f64 v[0:1], v[6:7], v[8:9]
	v_add_f64 v[2:3], v[6:7], -v[8:9]
	s_and_saveexec_b64 s[4:5], vcc
	s_xor_b64 s[4:5], exec, s[4:5]
	s_cbranch_execz .LBB0_14
; %bb.13:
	v_mov_b32_e32 v41, 0
	v_lshlrev_b64 v[0:1], 4, v[40:41]
	v_mov_b32_e32 v2, s7
	v_add_co_u32_e32 v0, vcc, s6, v0
	v_addc_co_u32_e32 v1, vcc, v2, v1, vcc
	global_load_dwordx4 v[2:5], v[0:1], off
	ds_read_b64 v[0:1], v10 offset:7848
	ds_read_b64 v[12:13], v45 offset:8
	v_add_f64 v[14:15], v[6:7], v[8:9]
	v_add_f64 v[8:9], v[6:7], -v[8:9]
	s_waitcnt lgkmcnt(0)
	v_add_f64 v[16:17], v[0:1], v[12:13]
	v_add_f64 v[0:1], v[12:13], -v[0:1]
	s_waitcnt vmcnt(0)
	v_fma_f64 v[6:7], -v[8:9], v[4:5], v[14:15]
	v_fma_f64 v[12:13], v[16:17], v[4:5], -v[0:1]
	v_fma_f64 v[14:15], v[8:9], v[4:5], v[14:15]
	v_fma_f64 v[18:19], v[16:17], v[4:5], v[0:1]
	;; [unrolled: 1-line block ×4, first 2 shown]
	v_fma_f64 v[0:1], -v[16:17], v[2:3], v[14:15]
	v_fma_f64 v[2:3], v[8:9], v[2:3], v[18:19]
	ds_write_b128 v10, v[4:7] offset:7840
	v_mov_b32_e32 v4, v40
	v_mov_b32_e32 v5, v41
.LBB0_14:
	s_andn2_saveexec_b64 s[4:5], s[4:5]
	s_cbranch_execz .LBB0_16
; %bb.15:
	ds_read_b128 v[4:7], v44 offset:3920
	s_waitcnt lgkmcnt(0)
	v_add_f64 v[12:13], v[4:5], v[4:5]
	v_mul_f64 v[14:15], v[6:7], -2.0
	v_mov_b32_e32 v4, 0
	v_mov_b32_e32 v5, 0
	ds_write_b128 v44, v[12:15] offset:3920
.LBB0_16:
	s_or_b64 exec, exec, s[4:5]
	v_lshlrev_b64 v[4:5], 4, v[4:5]
	v_mov_b32_e32 v6, s7
	v_add_co_u32_e32 v4, vcc, s6, v4
	v_addc_co_u32_e32 v5, vcc, v6, v5, vcc
	global_load_dwordx4 v[6:9], v[4:5], off offset:1120
	global_load_dwordx4 v[12:15], v[4:5], off offset:2240
	ds_write_b128 v45, v[0:3]
	ds_read_b128 v[0:3], v45 offset:1120
	ds_read_b128 v[16:19], v10 offset:6720
	v_cmp_gt_u32_e32 vcc, 35, v40
	s_waitcnt lgkmcnt(0)
	v_add_f64 v[20:21], v[0:1], v[16:17]
	v_add_f64 v[22:23], v[18:19], v[2:3]
	v_add_f64 v[24:25], v[0:1], -v[16:17]
	v_add_f64 v[0:1], v[2:3], -v[18:19]
	s_waitcnt vmcnt(1)
	v_fma_f64 v[2:3], v[24:25], v[8:9], v[20:21]
	v_fma_f64 v[16:17], v[22:23], v[8:9], v[0:1]
	v_fma_f64 v[18:19], -v[24:25], v[8:9], v[20:21]
	v_fma_f64 v[8:9], v[22:23], v[8:9], -v[0:1]
	v_fma_f64 v[0:1], -v[22:23], v[6:7], v[2:3]
	v_fma_f64 v[2:3], v[24:25], v[6:7], v[16:17]
	v_fma_f64 v[16:17], v[22:23], v[6:7], v[18:19]
	;; [unrolled: 1-line block ×3, first 2 shown]
	ds_write_b128 v45, v[0:3] offset:1120
	ds_write_b128 v10, v[16:19] offset:6720
	ds_read_b128 v[0:3], v45 offset:2240
	ds_read_b128 v[6:9], v10 offset:5600
	s_waitcnt lgkmcnt(0)
	v_add_f64 v[16:17], v[0:1], v[6:7]
	v_add_f64 v[18:19], v[8:9], v[2:3]
	v_add_f64 v[20:21], v[0:1], -v[6:7]
	v_add_f64 v[0:1], v[2:3], -v[8:9]
	s_waitcnt vmcnt(0)
	v_fma_f64 v[2:3], v[20:21], v[14:15], v[16:17]
	v_fma_f64 v[6:7], v[18:19], v[14:15], v[0:1]
	v_fma_f64 v[8:9], -v[20:21], v[14:15], v[16:17]
	v_fma_f64 v[14:15], v[18:19], v[14:15], -v[0:1]
	v_fma_f64 v[0:1], -v[18:19], v[12:13], v[2:3]
	v_fma_f64 v[2:3], v[20:21], v[12:13], v[6:7]
	v_fma_f64 v[6:7], v[18:19], v[12:13], v[8:9]
	;; [unrolled: 1-line block ×3, first 2 shown]
	ds_write_b128 v45, v[0:3] offset:2240
	ds_write_b128 v10, v[6:9] offset:5600
	s_and_saveexec_b64 s[4:5], vcc
	s_cbranch_execz .LBB0_18
; %bb.17:
	global_load_dwordx4 v[0:3], v[4:5], off offset:3360
	ds_read_b128 v[4:7], v45 offset:3360
	ds_read_b128 v[12:15], v10 offset:4480
	s_waitcnt lgkmcnt(0)
	v_add_f64 v[8:9], v[4:5], v[12:13]
	v_add_f64 v[16:17], v[14:15], v[6:7]
	v_add_f64 v[12:13], v[4:5], -v[12:13]
	v_add_f64 v[4:5], v[6:7], -v[14:15]
	s_waitcnt vmcnt(0)
	v_fma_f64 v[6:7], v[12:13], v[2:3], v[8:9]
	v_fma_f64 v[14:15], v[16:17], v[2:3], v[4:5]
	v_fma_f64 v[8:9], -v[12:13], v[2:3], v[8:9]
	v_fma_f64 v[18:19], v[16:17], v[2:3], -v[4:5]
	v_fma_f64 v[2:3], -v[16:17], v[0:1], v[6:7]
	v_fma_f64 v[4:5], v[12:13], v[0:1], v[14:15]
	v_fma_f64 v[6:7], v[16:17], v[0:1], v[8:9]
	;; [unrolled: 1-line block ×3, first 2 shown]
	ds_write_b128 v45, v[2:5] offset:3360
	ds_write_b128 v10, v[6:9] offset:4480
.LBB0_18:
	s_or_b64 exec, exec, s[4:5]
	v_lshl_add_u32 v47, v40, 4, 0
	s_waitcnt lgkmcnt(0)
	s_barrier
	s_barrier
	v_lshl_add_u32 v41, v11, 4, v47
	ds_read_b128 v[36:39], v45
	ds_read_b128 v[20:23], v41 offset:784
	ds_read_b128 v[28:31], v41 offset:1568
	;; [unrolled: 1-line block ×9, first 2 shown]
	v_cmp_gt_u32_e32 vcc, 49, v40
	s_waitcnt lgkmcnt(0)
	s_barrier
	s_and_saveexec_b64 s[4:5], vcc
	s_cbranch_execz .LBB0_20
; %bb.19:
	v_add_f64 v[56:57], v[38:39], v[30:31]
	v_add_f64 v[66:67], v[12:13], v[8:9]
	;; [unrolled: 1-line block ×9, first 2 shown]
	v_fma_f64 v[66:67], v[66:67], -0.5, v[20:21]
	v_fma_f64 v[68:69], v[68:69], -0.5, v[22:23]
	;; [unrolled: 1-line block ×3, first 2 shown]
	v_add_f64 v[20:21], v[20:21], v[16:17]
	v_add_f64 v[80:81], v[16:17], -v[0:1]
	s_mov_b32 s6, 0x134454ff
	s_mov_b32 s7, 0xbfee6f0e
	v_add_f64 v[56:57], v[56:57], v[26:27]
	v_fma_f64 v[48:49], v[48:49], -0.5, v[38:39]
	v_fma_f64 v[38:39], v[50:51], -0.5, v[38:39]
	;; [unrolled: 1-line block ×3, first 2 shown]
	v_add_f64 v[52:53], v[30:31], -v[34:35]
	v_add_f64 v[60:61], v[34:35], -v[30:31]
	;; [unrolled: 1-line block ×6, first 2 shown]
	v_add_f64 v[56:57], v[56:57], v[6:7]
	v_fma_f64 v[72:73], v[72:73], -0.5, v[22:23]
	v_add_f64 v[6:7], v[22:23], v[18:19]
	v_add_f64 v[22:23], v[16:17], -v[12:13]
	v_add_f64 v[78:79], v[18:19], -v[14:15]
	;; [unrolled: 1-line block ×4, first 2 shown]
	v_add_f64 v[20:21], v[20:21], v[12:13]
	v_add_f64 v[12:13], v[12:13], -v[8:9]
	v_fma_f64 v[84:85], v[80:81], s[6:7], v[68:69]
	s_mov_b32 s12, 0x4755a5e
	s_mov_b32 s13, 0xbfe2cf23
	v_add_f64 v[86:87], v[0:1], -v[8:9]
	s_mov_b32 s14, 0x372fe950
	v_add_f64 v[78:79], v[78:79], v[82:83]
	v_add_f64 v[54:55], v[28:29], v[4:5]
	v_add_f64 v[76:77], v[18:19], -v[2:3]
	v_fma_f64 v[84:85], v[12:13], s[12:13], v[84:85]
	s_mov_b32 s11, 0x3fee6f0e
	s_mov_b32 s10, s6
	;; [unrolled: 1-line block ×3, first 2 shown]
	v_add_f64 v[58:59], v[36:37], v[28:29]
	v_add_f64 v[62:63], v[28:29], -v[32:33]
	v_add_f64 v[74:75], v[4:5], -v[24:25]
	v_add_f64 v[6:7], v[6:7], v[14:15]
	v_add_f64 v[22:23], v[22:23], v[86:87]
	v_fma_f64 v[84:85], v[78:79], s[14:15], v[84:85]
	v_fma_f64 v[86:87], v[30:31], s[10:11], v[50:51]
	s_mov_b32 s18, 0x9b97f4a8
	v_fma_f64 v[36:37], v[54:55], -0.5, v[36:37]
	v_add_f64 v[54:55], v[28:29], -v[4:5]
	v_add_f64 v[18:19], v[14:15], -v[18:19]
	;; [unrolled: 1-line block ×3, first 2 shown]
	v_fma_f64 v[82:83], v[76:77], s[10:11], v[66:67]
	s_mov_b32 s17, 0x3fe2cf23
	s_mov_b32 s16, s12
	;; [unrolled: 1-line block ×3, first 2 shown]
	v_add_f64 v[58:59], v[58:59], v[32:33]
	v_add_f64 v[6:7], v[6:7], v[10:11]
	v_mul_f64 v[88:89], v[84:85], s[18:19]
	v_add_f64 v[62:63], v[62:63], v[74:75]
	v_mul_f64 v[74:75], v[84:85], s[12:13]
	v_fma_f64 v[84:85], v[34:35], s[16:17], v[86:87]
	v_add_f64 v[10:11], v[10:11], -v[2:3]
	v_fma_f64 v[86:87], v[12:13], s[10:11], v[72:73]
	v_add_f64 v[28:29], v[32:33], -v[28:29]
	v_add_f64 v[32:33], v[32:33], -v[24:25]
	v_fma_f64 v[82:83], v[14:15], s[16:17], v[82:83]
	v_add_f64 v[52:53], v[52:53], v[64:65]
	v_fma_f64 v[64:65], v[54:55], s[6:7], v[48:49]
	v_add_f64 v[58:59], v[58:59], v[24:25]
	v_add_f64 v[20:21], v[20:21], v[8:9]
	v_add_f64 v[8:9], v[8:9], -v[0:1]
	v_fma_f64 v[90:91], v[14:15], s[6:7], v[70:71]
	v_add_f64 v[10:11], v[18:19], v[10:11]
	v_fma_f64 v[18:19], v[80:81], s[12:13], v[86:87]
	v_fma_f64 v[82:83], v[22:23], s[14:15], v[82:83]
	;; [unrolled: 1-line block ×3, first 2 shown]
	v_add_f64 v[24:25], v[24:25], -v[4:5]
	v_add_f64 v[58:59], v[58:59], v[4:5]
	v_add_f64 v[16:17], v[16:17], v[8:9]
	v_fma_f64 v[4:5], v[76:77], s[16:17], v[90:91]
	s_mov_b32 s21, 0xbfd3c6ef
	v_fma_f64 v[8:9], v[10:11], s[14:15], v[18:19]
	v_fma_f64 v[88:89], v[82:83], s[16:17], v[88:89]
	;; [unrolled: 1-line block ×3, first 2 shown]
	s_mov_b32 s20, s14
	v_add_f64 v[86:87], v[20:21], v[0:1]
	v_add_f64 v[18:19], v[60:61], v[26:27]
	v_fma_f64 v[20:21], v[16:17], s[14:15], v[4:5]
	v_fma_f64 v[4:5], v[32:33], s[10:11], v[38:39]
	v_mul_f64 v[60:61], v[8:9], s[20:21]
	v_mul_f64 v[8:9], v[8:9], s[6:7]
	v_fma_f64 v[74:75], v[82:83], s[18:19], v[74:75]
	v_fma_f64 v[82:83], v[62:63], s[14:15], v[84:85]
	v_add_f64 v[84:85], v[6:7], v[2:3]
	v_add_f64 v[2:3], v[64:65], -v[88:89]
	v_add_f64 v[6:7], v[64:65], v[88:89]
	v_fma_f64 v[64:65], v[12:13], s[6:7], v[72:73]
	v_add_f64 v[24:25], v[28:29], v[24:25]
	v_fma_f64 v[28:29], v[54:55], s[12:13], v[4:5]
	v_fma_f64 v[70:71], v[14:15], s[10:11], v[70:71]
	;; [unrolled: 1-line block ×16, first 2 shown]
	v_add_f64 v[10:11], v[28:29], -v[60:61]
	v_add_f64 v[14:15], v[28:29], v[60:61]
	v_fma_f64 v[28:29], v[54:55], s[16:17], v[38:39]
	v_fma_f64 v[38:39], v[54:55], s[10:11], v[48:49]
	;; [unrolled: 1-line block ×7, first 2 shown]
	v_mul_f64 v[48:49], v[64:65], s[14:15]
	v_mul_f64 v[50:51], v[64:65], s[6:7]
	v_fma_f64 v[32:33], v[32:33], s[16:17], v[38:39]
	v_fma_f64 v[28:29], v[18:19], s[14:15], v[28:29]
	v_mul_f64 v[18:19], v[22:23], s[16:17]
	v_fma_f64 v[30:31], v[34:35], s[12:13], v[30:31]
	v_mul_f64 v[34:35], v[12:13], s[12:13]
	v_fma_f64 v[26:27], v[24:25], s[14:15], v[26:27]
	v_fma_f64 v[24:25], v[24:25], s[14:15], v[36:37]
	;; [unrolled: 1-line block ×3, first 2 shown]
	s_mov_b32 s19, 0x3fe9e377
	v_fma_f64 v[38:39], v[16:17], s[14:15], v[50:51]
	v_fma_f64 v[32:33], v[52:53], s[14:15], v[32:33]
	;; [unrolled: 1-line block ×5, first 2 shown]
	v_add_f64 v[30:31], v[56:57], v[84:85]
	v_add_f64 v[18:19], v[28:29], -v[36:37]
	v_add_f64 v[22:23], v[28:29], v[36:37]
	v_add_f64 v[28:29], v[58:59], v[86:87]
	v_add_f64 v[8:9], v[26:27], -v[20:21]
	v_add_f64 v[12:13], v[26:27], v[20:21]
	v_add_f64 v[16:17], v[24:25], -v[38:39]
	v_add_f64 v[20:21], v[24:25], v[38:39]
	v_add_f64 v[26:27], v[32:33], v[48:49]
	;; [unrolled: 1-line block ×4, first 2 shown]
	v_add_f64 v[38:39], v[56:57], -v[84:85]
	v_add_f64 v[36:37], v[58:59], -v[86:87]
	;; [unrolled: 1-line block ×4, first 2 shown]
	v_mul_u32_u24_e32 v48, 0x90, v40
	v_add3_u32 v47, v47, v48, v46
	v_add_f64 v[0:1], v[82:83], -v[74:75]
	ds_write_b128 v47, v[28:31]
	ds_write_b128 v47, v[24:27] offset:16
	ds_write_b128 v47, v[20:23] offset:32
	;; [unrolled: 1-line block ×9, first 2 shown]
.LBB0_20:
	s_or_b64 exec, exec, s[4:5]
	s_movk_i32 s4, 0xcd
	v_mul_lo_u16_sdwa v0, v40, s4 dst_sel:DWORD dst_unused:UNUSED_PAD src0_sel:BYTE_0 src1_sel:DWORD
	v_lshrrev_b16_e32 v59, 11, v0
	v_mul_lo_u16_e32 v0, 10, v59
	v_sub_u16_e32 v60, v40, v0
	v_mov_b32_e32 v0, 6
	v_mul_u32_u24_sdwa v0, v60, v0 dst_sel:DWORD dst_unused:UNUSED_PAD src0_sel:BYTE_0 src1_sel:DWORD
	v_lshlrev_b32_e32 v24, 4, v0
	s_waitcnt lgkmcnt(0)
	s_barrier
	global_load_dwordx4 v[0:3], v24, s[8:9]
	global_load_dwordx4 v[4:7], v24, s[8:9] offset:16
	global_load_dwordx4 v[8:11], v24, s[8:9] offset:32
	;; [unrolled: 1-line block ×5, first 2 shown]
	ds_read_b128 v[24:27], v45
	ds_read_b128 v[28:31], v41 offset:1120
	ds_read_b128 v[32:35], v41 offset:2240
	;; [unrolled: 1-line block ×6, first 2 shown]
	s_movk_i32 s26, 0x460
	v_mov_b32_e32 v61, 4
	v_mad_u32_u24 v59, v59, s26, 0
	v_lshlrev_b32_sdwa v60, v61, v60 dst_sel:DWORD dst_unused:UNUSED_PAD src0_sel:DWORD src1_sel:BYTE_0
	v_add3_u32 v71, v59, v60, v46
	s_mov_b32 s6, 0x37e14327
	s_mov_b32 s4, 0x36b3c0b5
	;; [unrolled: 1-line block ×20, first 2 shown]
	s_waitcnt vmcnt(0) lgkmcnt(0)
	s_barrier
	v_mul_f64 v[59:60], v[30:31], v[2:3]
	v_mul_f64 v[2:3], v[28:29], v[2:3]
	;; [unrolled: 1-line block ×12, first 2 shown]
	v_fma_f64 v[28:29], v[28:29], v[0:1], v[59:60]
	v_fma_f64 v[0:1], v[30:31], v[0:1], -v[2:3]
	v_fma_f64 v[2:3], v[32:33], v[4:5], v[61:62]
	v_fma_f64 v[4:5], v[34:35], v[4:5], -v[6:7]
	;; [unrolled: 2-line block ×6, first 2 shown]
	v_add_f64 v[14:15], v[28:29], v[6:7]
	v_add_f64 v[30:31], v[0:1], v[16:17]
	v_add_f64 v[6:7], v[28:29], -v[6:7]
	v_add_f64 v[0:1], v[0:1], -v[16:17]
	v_add_f64 v[16:17], v[2:3], v[10:11]
	v_add_f64 v[28:29], v[4:5], v[20:21]
	v_add_f64 v[2:3], v[2:3], -v[10:11]
	v_add_f64 v[4:5], v[4:5], -v[20:21]
	;; [unrolled: 4-line block ×4, first 2 shown]
	v_add_f64 v[14:15], v[14:15], -v[10:11]
	v_add_f64 v[30:31], v[30:31], -v[20:21]
	;; [unrolled: 1-line block ×3, first 2 shown]
	v_add_f64 v[38:39], v[8:9], v[4:5]
	v_add_f64 v[46:47], v[18:19], -v[2:3]
	v_add_f64 v[48:49], v[8:9], -v[4:5]
	v_add_f64 v[10:11], v[10:11], v[12:13]
	v_add_f64 v[12:13], v[20:21], v[22:23]
	v_add_f64 v[50:51], v[2:3], -v[6:7]
	v_add_f64 v[4:5], v[4:5], -v[0:1]
	;; [unrolled: 1-line block ×3, first 2 shown]
	v_add_f64 v[36:37], v[18:19], v[2:3]
	v_add_f64 v[18:19], v[6:7], -v[18:19]
	v_add_f64 v[8:9], v[0:1], -v[8:9]
	v_add_f64 v[20:21], v[38:39], v[0:1]
	v_mul_f64 v[14:15], v[14:15], s[6:7]
	v_mul_f64 v[22:23], v[30:31], s[6:7]
	;; [unrolled: 1-line block ×5, first 2 shown]
	v_add_f64 v[0:1], v[24:25], v[10:11]
	v_add_f64 v[2:3], v[26:27], v[12:13]
	v_mul_f64 v[48:49], v[50:51], s[10:11]
	v_mul_f64 v[52:53], v[4:5], s[10:11]
	v_add_f64 v[6:7], v[36:37], v[6:7]
	v_mul_f64 v[36:37], v[28:29], s[4:5]
	v_fma_f64 v[16:17], v[16:17], s[4:5], v[14:15]
	v_fma_f64 v[24:25], v[28:29], s[4:5], v[22:23]
	v_fma_f64 v[26:27], v[32:33], s[16:17], -v[30:31]
	v_fma_f64 v[14:15], v[32:33], s[18:19], -v[14:15]
	v_fma_f64 v[30:31], v[18:19], s[20:21], v[38:39]
	v_fma_f64 v[32:33], v[8:9], s[20:21], v[46:47]
	;; [unrolled: 1-line block ×4, first 2 shown]
	v_fma_f64 v[22:23], v[34:35], s[18:19], -v[22:23]
	v_fma_f64 v[4:5], v[4:5], s[10:11], -v[46:47]
	;; [unrolled: 1-line block ×6, first 2 shown]
	v_fma_f64 v[30:31], v[6:7], s[22:23], v[30:31]
	v_fma_f64 v[32:33], v[20:21], s[22:23], v[32:33]
	v_add_f64 v[46:47], v[16:17], v[10:11]
	v_add_f64 v[48:49], v[24:25], v[12:13]
	v_fma_f64 v[36:37], v[20:21], s[22:23], v[4:5]
	v_fma_f64 v[38:39], v[6:7], s[22:23], v[18:19]
	;; [unrolled: 1-line block ×3, first 2 shown]
	v_add_f64 v[24:25], v[14:15], v[10:11]
	v_add_f64 v[22:23], v[22:23], v[12:13]
	v_fma_f64 v[34:35], v[6:7], s[22:23], v[34:35]
	v_add_f64 v[16:17], v[26:27], v[10:11]
	v_add_f64 v[18:19], v[28:29], v[12:13]
	;; [unrolled: 1-line block ×3, first 2 shown]
	v_add_f64 v[6:7], v[48:49], -v[30:31]
	v_add_f64 v[26:27], v[30:31], v[48:49]
	v_add_f64 v[8:9], v[20:21], v[24:25]
	v_add_f64 v[10:11], v[22:23], -v[38:39]
	v_add_f64 v[20:21], v[24:25], -v[20:21]
	;; [unrolled: 1-line block ×3, first 2 shown]
	v_add_f64 v[14:15], v[34:35], v[18:19]
	v_add_f64 v[16:17], v[36:37], v[16:17]
	v_add_f64 v[18:19], v[18:19], -v[34:35]
	v_add_f64 v[22:23], v[38:39], v[22:23]
	v_add_f64 v[24:25], v[46:47], -v[32:33]
	ds_write_b128 v71, v[0:3]
	ds_write_b128 v71, v[4:7] offset:160
	ds_write_b128 v71, v[8:11] offset:320
	;; [unrolled: 1-line block ×6, first 2 shown]
	v_mul_u32_u24_e32 v0, 6, v40
	v_lshlrev_b32_e32 v24, 4, v0
	s_waitcnt lgkmcnt(0)
	s_barrier
	global_load_dwordx4 v[0:3], v24, s[8:9] offset:960
	global_load_dwordx4 v[4:7], v24, s[8:9] offset:976
	global_load_dwordx4 v[8:11], v24, s[8:9] offset:992
	global_load_dwordx4 v[12:15], v24, s[8:9] offset:1008
	global_load_dwordx4 v[16:19], v24, s[8:9] offset:1040
	global_load_dwordx4 v[20:23], v24, s[8:9] offset:1024
	ds_read_b128 v[24:27], v45
	ds_read_b128 v[28:31], v41 offset:1120
	ds_read_b128 v[32:35], v41 offset:2240
	;; [unrolled: 1-line block ×6, first 2 shown]
	s_waitcnt vmcnt(0) lgkmcnt(0)
	s_barrier
	v_mul_f64 v[57:58], v[30:31], v[2:3]
	v_mul_f64 v[2:3], v[28:29], v[2:3]
	;; [unrolled: 1-line block ×12, first 2 shown]
	v_fma_f64 v[28:29], v[28:29], v[0:1], v[57:58]
	v_fma_f64 v[0:1], v[30:31], v[0:1], -v[2:3]
	v_fma_f64 v[2:3], v[32:33], v[4:5], v[59:60]
	v_fma_f64 v[4:5], v[34:35], v[4:5], -v[6:7]
	;; [unrolled: 2-line block ×6, first 2 shown]
	v_add_f64 v[14:15], v[28:29], v[6:7]
	v_add_f64 v[30:31], v[0:1], v[16:17]
	v_add_f64 v[6:7], v[28:29], -v[6:7]
	v_add_f64 v[0:1], v[0:1], -v[16:17]
	v_add_f64 v[16:17], v[2:3], v[10:11]
	v_add_f64 v[28:29], v[4:5], v[20:21]
	v_add_f64 v[2:3], v[2:3], -v[10:11]
	v_add_f64 v[4:5], v[4:5], -v[20:21]
	;; [unrolled: 4-line block ×4, first 2 shown]
	v_add_f64 v[14:15], v[14:15], -v[10:11]
	v_add_f64 v[30:31], v[30:31], -v[20:21]
	;; [unrolled: 1-line block ×3, first 2 shown]
	v_add_f64 v[38:39], v[8:9], v[4:5]
	v_add_f64 v[45:46], v[18:19], -v[2:3]
	v_add_f64 v[47:48], v[8:9], -v[4:5]
	v_add_f64 v[10:11], v[10:11], v[12:13]
	v_add_f64 v[12:13], v[20:21], v[22:23]
	v_add_f64 v[49:50], v[2:3], -v[6:7]
	v_add_f64 v[4:5], v[4:5], -v[0:1]
	;; [unrolled: 1-line block ×3, first 2 shown]
	v_add_f64 v[36:37], v[18:19], v[2:3]
	v_add_f64 v[18:19], v[6:7], -v[18:19]
	v_add_f64 v[8:9], v[0:1], -v[8:9]
	v_add_f64 v[20:21], v[38:39], v[0:1]
	v_mul_f64 v[14:15], v[14:15], s[6:7]
	v_mul_f64 v[22:23], v[30:31], s[6:7]
	;; [unrolled: 1-line block ×5, first 2 shown]
	v_add_f64 v[0:1], v[24:25], v[10:11]
	v_add_f64 v[2:3], v[26:27], v[12:13]
	v_mul_f64 v[47:48], v[49:50], s[10:11]
	v_mul_f64 v[51:52], v[4:5], s[10:11]
	v_add_f64 v[6:7], v[36:37], v[6:7]
	v_mul_f64 v[36:37], v[28:29], s[4:5]
	v_fma_f64 v[16:17], v[16:17], s[4:5], v[14:15]
	v_fma_f64 v[24:25], v[28:29], s[4:5], v[22:23]
	v_fma_f64 v[26:27], v[32:33], s[16:17], -v[30:31]
	v_fma_f64 v[14:15], v[32:33], s[18:19], -v[14:15]
	v_fma_f64 v[30:31], v[18:19], s[20:21], v[38:39]
	v_fma_f64 v[32:33], v[8:9], s[20:21], v[45:46]
	;; [unrolled: 1-line block ×4, first 2 shown]
	v_fma_f64 v[22:23], v[34:35], s[18:19], -v[22:23]
	v_fma_f64 v[4:5], v[4:5], s[10:11], -v[45:46]
	;; [unrolled: 1-line block ×6, first 2 shown]
	v_fma_f64 v[30:31], v[6:7], s[22:23], v[30:31]
	v_fma_f64 v[32:33], v[20:21], s[22:23], v[32:33]
	v_add_f64 v[45:46], v[16:17], v[10:11]
	v_add_f64 v[47:48], v[24:25], v[12:13]
	v_fma_f64 v[36:37], v[20:21], s[22:23], v[4:5]
	v_fma_f64 v[38:39], v[6:7], s[22:23], v[18:19]
	v_fma_f64 v[20:21], v[20:21], s[22:23], v[8:9]
	v_add_f64 v[24:25], v[14:15], v[10:11]
	v_add_f64 v[22:23], v[22:23], v[12:13]
	v_fma_f64 v[34:35], v[6:7], s[22:23], v[34:35]
	v_add_f64 v[16:17], v[26:27], v[10:11]
	v_add_f64 v[18:19], v[28:29], v[12:13]
	;; [unrolled: 1-line block ×3, first 2 shown]
	v_add_f64 v[6:7], v[47:48], -v[30:31]
	v_add_f64 v[26:27], v[30:31], v[47:48]
	v_add_f64 v[8:9], v[20:21], v[24:25]
	v_add_f64 v[10:11], v[22:23], -v[38:39]
	v_add_f64 v[20:21], v[24:25], -v[20:21]
	;; [unrolled: 1-line block ×3, first 2 shown]
	v_add_f64 v[14:15], v[34:35], v[18:19]
	v_add_f64 v[16:17], v[36:37], v[16:17]
	v_add_f64 v[18:19], v[18:19], -v[34:35]
	v_add_f64 v[22:23], v[38:39], v[22:23]
	v_add_f64 v[24:25], v[45:46], -v[32:33]
	ds_write_b128 v41, v[0:3]
	ds_write_b128 v41, v[4:7] offset:1120
	ds_write_b128 v41, v[8:11] offset:2240
	;; [unrolled: 1-line block ×6, first 2 shown]
	s_waitcnt lgkmcnt(0)
	s_barrier
	s_and_saveexec_b64 s[4:5], s[0:1]
	s_cbranch_execz .LBB0_22
; %bb.21:
	v_lshl_add_u32 v10, v40, 4, v44
	v_mov_b32_e32 v41, 0
	ds_read_b128 v[0:3], v10
	v_mov_b32_e32 v4, s3
	v_add_co_u32_e32 v11, vcc, s2, v42
	v_addc_co_u32_e32 v12, vcc, v4, v43, vcc
	v_lshlrev_b64 v[4:5], 4, v[40:41]
	v_add_co_u32_e32 v8, vcc, v11, v4
	v_addc_co_u32_e32 v9, vcc, v12, v5, vcc
	ds_read_b128 v[4:7], v10 offset:1120
	s_waitcnt lgkmcnt(1)
	global_store_dwordx4 v[8:9], v[0:3], off
	s_nop 0
	v_add_u32_e32 v0, 0x46, v40
	v_mov_b32_e32 v1, v41
	v_lshlrev_b64 v[0:1], 4, v[0:1]
	v_add_co_u32_e32 v0, vcc, v11, v0
	v_addc_co_u32_e32 v1, vcc, v12, v1, vcc
	s_waitcnt lgkmcnt(0)
	global_store_dwordx4 v[0:1], v[4:7], off
	ds_read_b128 v[0:3], v10 offset:2240
	v_add_u32_e32 v4, 0x8c, v40
	v_mov_b32_e32 v5, v41
	v_lshlrev_b64 v[4:5], 4, v[4:5]
	v_add_co_u32_e32 v8, vcc, v11, v4
	v_addc_co_u32_e32 v9, vcc, v12, v5, vcc
	ds_read_b128 v[4:7], v10 offset:3360
	s_waitcnt lgkmcnt(1)
	global_store_dwordx4 v[8:9], v[0:3], off
	s_nop 0
	v_add_u32_e32 v0, 0xd2, v40
	v_mov_b32_e32 v1, v41
	v_lshlrev_b64 v[0:1], 4, v[0:1]
	v_add_co_u32_e32 v0, vcc, v11, v0
	v_addc_co_u32_e32 v1, vcc, v12, v1, vcc
	s_waitcnt lgkmcnt(0)
	global_store_dwordx4 v[0:1], v[4:7], off
	ds_read_b128 v[0:3], v10 offset:4480
	v_add_u32_e32 v4, 0x118, v40
	v_mov_b32_e32 v5, v41
	v_lshlrev_b64 v[4:5], 4, v[4:5]
	v_add_co_u32_e32 v8, vcc, v11, v4
	v_addc_co_u32_e32 v9, vcc, v12, v5, vcc
	ds_read_b128 v[4:7], v10 offset:5600
	s_waitcnt lgkmcnt(1)
	global_store_dwordx4 v[8:9], v[0:3], off
	s_nop 0
	v_add_u32_e32 v0, 0x15e, v40
	v_mov_b32_e32 v1, v41
	v_lshlrev_b64 v[0:1], 4, v[0:1]
	v_add_u32_e32 v40, 0x1a4, v40
	v_add_co_u32_e32 v0, vcc, v11, v0
	v_addc_co_u32_e32 v1, vcc, v12, v1, vcc
	s_waitcnt lgkmcnt(0)
	global_store_dwordx4 v[0:1], v[4:7], off
	ds_read_b128 v[0:3], v10 offset:6720
	v_lshlrev_b64 v[4:5], 4, v[40:41]
	v_add_co_u32_e32 v4, vcc, v11, v4
	v_addc_co_u32_e32 v5, vcc, v12, v5, vcc
	s_waitcnt lgkmcnt(0)
	global_store_dwordx4 v[4:5], v[0:3], off
.LBB0_22:
	s_endpgm
	.section	.rodata,"a",@progbits
	.p2align	6, 0x0
	.amdhsa_kernel fft_rtc_back_len490_factors_10_7_7_wgs_210_tpt_70_dp_ip_CI_unitstride_sbrr_C2R_dirReg
		.amdhsa_group_segment_fixed_size 0
		.amdhsa_private_segment_fixed_size 0
		.amdhsa_kernarg_size 88
		.amdhsa_user_sgpr_count 6
		.amdhsa_user_sgpr_private_segment_buffer 1
		.amdhsa_user_sgpr_dispatch_ptr 0
		.amdhsa_user_sgpr_queue_ptr 0
		.amdhsa_user_sgpr_kernarg_segment_ptr 1
		.amdhsa_user_sgpr_dispatch_id 0
		.amdhsa_user_sgpr_flat_scratch_init 0
		.amdhsa_user_sgpr_private_segment_size 0
		.amdhsa_uses_dynamic_stack 0
		.amdhsa_system_sgpr_private_segment_wavefront_offset 0
		.amdhsa_system_sgpr_workgroup_id_x 1
		.amdhsa_system_sgpr_workgroup_id_y 0
		.amdhsa_system_sgpr_workgroup_id_z 0
		.amdhsa_system_sgpr_workgroup_info 0
		.amdhsa_system_vgpr_workitem_id 0
		.amdhsa_next_free_vgpr 92
		.amdhsa_next_free_sgpr 27
		.amdhsa_reserve_vcc 1
		.amdhsa_reserve_flat_scratch 0
		.amdhsa_float_round_mode_32 0
		.amdhsa_float_round_mode_16_64 0
		.amdhsa_float_denorm_mode_32 3
		.amdhsa_float_denorm_mode_16_64 3
		.amdhsa_dx10_clamp 1
		.amdhsa_ieee_mode 1
		.amdhsa_fp16_overflow 0
		.amdhsa_exception_fp_ieee_invalid_op 0
		.amdhsa_exception_fp_denorm_src 0
		.amdhsa_exception_fp_ieee_div_zero 0
		.amdhsa_exception_fp_ieee_overflow 0
		.amdhsa_exception_fp_ieee_underflow 0
		.amdhsa_exception_fp_ieee_inexact 0
		.amdhsa_exception_int_div_zero 0
	.end_amdhsa_kernel
	.text
.Lfunc_end0:
	.size	fft_rtc_back_len490_factors_10_7_7_wgs_210_tpt_70_dp_ip_CI_unitstride_sbrr_C2R_dirReg, .Lfunc_end0-fft_rtc_back_len490_factors_10_7_7_wgs_210_tpt_70_dp_ip_CI_unitstride_sbrr_C2R_dirReg
                                        ; -- End function
	.section	.AMDGPU.csdata,"",@progbits
; Kernel info:
; codeLenInByte = 6388
; NumSgprs: 31
; NumVgprs: 92
; ScratchSize: 0
; MemoryBound: 0
; FloatMode: 240
; IeeeMode: 1
; LDSByteSize: 0 bytes/workgroup (compile time only)
; SGPRBlocks: 3
; VGPRBlocks: 22
; NumSGPRsForWavesPerEU: 31
; NumVGPRsForWavesPerEU: 92
; Occupancy: 2
; WaveLimiterHint : 1
; COMPUTE_PGM_RSRC2:SCRATCH_EN: 0
; COMPUTE_PGM_RSRC2:USER_SGPR: 6
; COMPUTE_PGM_RSRC2:TRAP_HANDLER: 0
; COMPUTE_PGM_RSRC2:TGID_X_EN: 1
; COMPUTE_PGM_RSRC2:TGID_Y_EN: 0
; COMPUTE_PGM_RSRC2:TGID_Z_EN: 0
; COMPUTE_PGM_RSRC2:TIDIG_COMP_CNT: 0
	.type	__hip_cuid_4cf61f35de58ae55,@object ; @__hip_cuid_4cf61f35de58ae55
	.section	.bss,"aw",@nobits
	.globl	__hip_cuid_4cf61f35de58ae55
__hip_cuid_4cf61f35de58ae55:
	.byte	0                               ; 0x0
	.size	__hip_cuid_4cf61f35de58ae55, 1

	.ident	"AMD clang version 19.0.0git (https://github.com/RadeonOpenCompute/llvm-project roc-6.4.0 25133 c7fe45cf4b819c5991fe208aaa96edf142730f1d)"
	.section	".note.GNU-stack","",@progbits
	.addrsig
	.addrsig_sym __hip_cuid_4cf61f35de58ae55
	.amdgpu_metadata
---
amdhsa.kernels:
  - .args:
      - .actual_access:  read_only
        .address_space:  global
        .offset:         0
        .size:           8
        .value_kind:     global_buffer
      - .offset:         8
        .size:           8
        .value_kind:     by_value
      - .actual_access:  read_only
        .address_space:  global
        .offset:         16
        .size:           8
        .value_kind:     global_buffer
      - .actual_access:  read_only
        .address_space:  global
        .offset:         24
        .size:           8
        .value_kind:     global_buffer
      - .offset:         32
        .size:           8
        .value_kind:     by_value
      - .actual_access:  read_only
        .address_space:  global
        .offset:         40
        .size:           8
        .value_kind:     global_buffer
      - .actual_access:  read_only
        .address_space:  global
        .offset:         48
        .size:           8
        .value_kind:     global_buffer
      - .offset:         56
        .size:           4
        .value_kind:     by_value
      - .actual_access:  read_only
        .address_space:  global
        .offset:         64
        .size:           8
        .value_kind:     global_buffer
      - .actual_access:  read_only
        .address_space:  global
        .offset:         72
        .size:           8
        .value_kind:     global_buffer
      - .address_space:  global
        .offset:         80
        .size:           8
        .value_kind:     global_buffer
    .group_segment_fixed_size: 0
    .kernarg_segment_align: 8
    .kernarg_segment_size: 88
    .language:       OpenCL C
    .language_version:
      - 2
      - 0
    .max_flat_workgroup_size: 210
    .name:           fft_rtc_back_len490_factors_10_7_7_wgs_210_tpt_70_dp_ip_CI_unitstride_sbrr_C2R_dirReg
    .private_segment_fixed_size: 0
    .sgpr_count:     31
    .sgpr_spill_count: 0
    .symbol:         fft_rtc_back_len490_factors_10_7_7_wgs_210_tpt_70_dp_ip_CI_unitstride_sbrr_C2R_dirReg.kd
    .uniform_work_group_size: 1
    .uses_dynamic_stack: false
    .vgpr_count:     92
    .vgpr_spill_count: 0
    .wavefront_size: 64
amdhsa.target:   amdgcn-amd-amdhsa--gfx906
amdhsa.version:
  - 1
  - 2
...

	.end_amdgpu_metadata
